;; amdgpu-corpus repo=ROCm/rocFFT kind=compiled arch=gfx1030 opt=O3
	.text
	.amdgcn_target "amdgcn-amd-amdhsa--gfx1030"
	.amdhsa_code_object_version 6
	.protected	fft_rtc_fwd_len26_factors_13_2_wgs_64_tpt_2_halfLds_half_op_CI_CI_unitstride_sbrr_R2C_dirReg ; -- Begin function fft_rtc_fwd_len26_factors_13_2_wgs_64_tpt_2_halfLds_half_op_CI_CI_unitstride_sbrr_R2C_dirReg
	.globl	fft_rtc_fwd_len26_factors_13_2_wgs_64_tpt_2_halfLds_half_op_CI_CI_unitstride_sbrr_R2C_dirReg
	.p2align	8
	.type	fft_rtc_fwd_len26_factors_13_2_wgs_64_tpt_2_halfLds_half_op_CI_CI_unitstride_sbrr_R2C_dirReg,@function
fft_rtc_fwd_len26_factors_13_2_wgs_64_tpt_2_halfLds_half_op_CI_CI_unitstride_sbrr_R2C_dirReg: ; @fft_rtc_fwd_len26_factors_13_2_wgs_64_tpt_2_halfLds_half_op_CI_CI_unitstride_sbrr_R2C_dirReg
; %bb.0:
	s_clause 0x2
	s_load_dwordx4 s[12:15], s[4:5], 0x0
	s_load_dwordx4 s[8:11], s[4:5], 0x58
	;; [unrolled: 1-line block ×3, first 2 shown]
	v_lshrrev_b32_e32 v9, 1, v0
	v_mov_b32_e32 v3, 0
	v_mov_b32_e32 v15, 0
	;; [unrolled: 1-line block ×3, first 2 shown]
	v_lshl_or_b32 v7, s6, 5, v9
	v_mov_b32_e32 v8, v3
	s_waitcnt lgkmcnt(0)
	v_cmp_lt_u64_e64 s0, s[14:15], 2
	s_and_b32 vcc_lo, exec_lo, s0
	s_cbranch_vccnz .LBB0_8
; %bb.1:
	s_load_dwordx2 s[0:1], s[4:5], 0x10
	v_mov_b32_e32 v15, 0
	v_mov_b32_e32 v16, 0
	s_add_u32 s2, s18, 8
	s_addc_u32 s3, s19, 0
	v_mov_b32_e32 v1, v15
	s_add_u32 s6, s16, 8
	v_mov_b32_e32 v2, v16
	s_addc_u32 s7, s17, 0
	s_mov_b64 s[22:23], 1
	s_waitcnt lgkmcnt(0)
	s_add_u32 s20, s0, 8
	s_addc_u32 s21, s1, 0
.LBB0_2:                                ; =>This Inner Loop Header: Depth=1
	s_load_dwordx2 s[24:25], s[20:21], 0x0
                                        ; implicit-def: $vgpr5_vgpr6
	s_mov_b32 s0, exec_lo
	s_waitcnt lgkmcnt(0)
	v_or_b32_e32 v4, s25, v8
	v_cmpx_ne_u64_e32 0, v[3:4]
	s_xor_b32 s1, exec_lo, s0
	s_cbranch_execz .LBB0_4
; %bb.3:                                ;   in Loop: Header=BB0_2 Depth=1
	v_cvt_f32_u32_e32 v4, s24
	v_cvt_f32_u32_e32 v5, s25
	s_sub_u32 s0, 0, s24
	s_subb_u32 s26, 0, s25
	v_fmac_f32_e32 v4, 0x4f800000, v5
	v_rcp_f32_e32 v4, v4
	v_mul_f32_e32 v4, 0x5f7ffffc, v4
	v_mul_f32_e32 v5, 0x2f800000, v4
	v_trunc_f32_e32 v5, v5
	v_fmac_f32_e32 v4, 0xcf800000, v5
	v_cvt_u32_f32_e32 v5, v5
	v_cvt_u32_f32_e32 v4, v4
	v_mul_lo_u32 v6, s0, v5
	v_mul_hi_u32 v10, s0, v4
	v_mul_lo_u32 v11, s26, v4
	v_add_nc_u32_e32 v6, v10, v6
	v_mul_lo_u32 v10, s0, v4
	v_add_nc_u32_e32 v6, v6, v11
	v_mul_hi_u32 v11, v4, v10
	v_mul_lo_u32 v12, v4, v6
	v_mul_hi_u32 v13, v4, v6
	v_mul_hi_u32 v14, v5, v10
	v_mul_lo_u32 v10, v5, v10
	v_mul_hi_u32 v17, v5, v6
	v_mul_lo_u32 v6, v5, v6
	v_add_co_u32 v11, vcc_lo, v11, v12
	v_add_co_ci_u32_e32 v12, vcc_lo, 0, v13, vcc_lo
	v_add_co_u32 v10, vcc_lo, v11, v10
	v_add_co_ci_u32_e32 v10, vcc_lo, v12, v14, vcc_lo
	v_add_co_ci_u32_e32 v11, vcc_lo, 0, v17, vcc_lo
	v_add_co_u32 v6, vcc_lo, v10, v6
	v_add_co_ci_u32_e32 v10, vcc_lo, 0, v11, vcc_lo
	v_add_co_u32 v4, vcc_lo, v4, v6
	v_add_co_ci_u32_e32 v5, vcc_lo, v5, v10, vcc_lo
	v_mul_hi_u32 v6, s0, v4
	v_mul_lo_u32 v11, s26, v4
	v_mul_lo_u32 v10, s0, v5
	v_add_nc_u32_e32 v6, v6, v10
	v_mul_lo_u32 v10, s0, v4
	v_add_nc_u32_e32 v6, v6, v11
	v_mul_hi_u32 v11, v4, v10
	v_mul_lo_u32 v12, v4, v6
	v_mul_hi_u32 v13, v4, v6
	v_mul_hi_u32 v14, v5, v10
	v_mul_lo_u32 v10, v5, v10
	v_mul_hi_u32 v17, v5, v6
	v_mul_lo_u32 v6, v5, v6
	v_add_co_u32 v11, vcc_lo, v11, v12
	v_add_co_ci_u32_e32 v12, vcc_lo, 0, v13, vcc_lo
	v_add_co_u32 v10, vcc_lo, v11, v10
	v_add_co_ci_u32_e32 v10, vcc_lo, v12, v14, vcc_lo
	v_add_co_ci_u32_e32 v11, vcc_lo, 0, v17, vcc_lo
	v_add_co_u32 v6, vcc_lo, v10, v6
	v_add_co_ci_u32_e32 v10, vcc_lo, 0, v11, vcc_lo
	v_add_co_u32 v6, vcc_lo, v4, v6
	v_add_co_ci_u32_e32 v12, vcc_lo, v5, v10, vcc_lo
	v_mul_hi_u32 v14, v7, v6
	v_mad_u64_u32 v[10:11], null, v8, v6, 0
	v_mad_u64_u32 v[4:5], null, v7, v12, 0
	;; [unrolled: 1-line block ×3, first 2 shown]
	v_add_co_u32 v4, vcc_lo, v14, v4
	v_add_co_ci_u32_e32 v5, vcc_lo, 0, v5, vcc_lo
	v_add_co_u32 v4, vcc_lo, v4, v10
	v_add_co_ci_u32_e32 v4, vcc_lo, v5, v11, vcc_lo
	v_add_co_ci_u32_e32 v5, vcc_lo, 0, v13, vcc_lo
	v_add_co_u32 v10, vcc_lo, v4, v12
	v_add_co_ci_u32_e32 v6, vcc_lo, 0, v5, vcc_lo
	v_mul_lo_u32 v11, s25, v10
	v_mad_u64_u32 v[4:5], null, s24, v10, 0
	v_mul_lo_u32 v12, s24, v6
	v_sub_co_u32 v4, vcc_lo, v7, v4
	v_add3_u32 v5, v5, v12, v11
	v_sub_nc_u32_e32 v11, v8, v5
	v_subrev_co_ci_u32_e64 v11, s0, s25, v11, vcc_lo
	v_add_co_u32 v12, s0, v10, 2
	v_add_co_ci_u32_e64 v13, s0, 0, v6, s0
	v_sub_co_u32 v14, s0, v4, s24
	v_sub_co_ci_u32_e32 v5, vcc_lo, v8, v5, vcc_lo
	v_subrev_co_ci_u32_e64 v11, s0, 0, v11, s0
	v_cmp_le_u32_e32 vcc_lo, s24, v14
	v_cmp_eq_u32_e64 s0, s25, v5
	v_cndmask_b32_e64 v14, 0, -1, vcc_lo
	v_cmp_le_u32_e32 vcc_lo, s25, v11
	v_cndmask_b32_e64 v17, 0, -1, vcc_lo
	v_cmp_le_u32_e32 vcc_lo, s24, v4
	;; [unrolled: 2-line block ×3, first 2 shown]
	v_cndmask_b32_e64 v18, 0, -1, vcc_lo
	v_cmp_eq_u32_e32 vcc_lo, s25, v11
	v_cndmask_b32_e64 v4, v18, v4, s0
	v_cndmask_b32_e32 v11, v17, v14, vcc_lo
	v_add_co_u32 v14, vcc_lo, v10, 1
	v_add_co_ci_u32_e32 v17, vcc_lo, 0, v6, vcc_lo
	v_cmp_ne_u32_e32 vcc_lo, 0, v11
	v_cndmask_b32_e32 v5, v17, v13, vcc_lo
	v_cndmask_b32_e32 v11, v14, v12, vcc_lo
	v_cmp_ne_u32_e32 vcc_lo, 0, v4
	v_cndmask_b32_e32 v6, v6, v5, vcc_lo
	v_cndmask_b32_e32 v5, v10, v11, vcc_lo
.LBB0_4:                                ;   in Loop: Header=BB0_2 Depth=1
	s_andn2_saveexec_b32 s0, s1
	s_cbranch_execz .LBB0_6
; %bb.5:                                ;   in Loop: Header=BB0_2 Depth=1
	v_cvt_f32_u32_e32 v4, s24
	s_sub_i32 s1, 0, s24
	v_rcp_iflag_f32_e32 v4, v4
	v_mul_f32_e32 v4, 0x4f7ffffe, v4
	v_cvt_u32_f32_e32 v4, v4
	v_mul_lo_u32 v5, s1, v4
	v_mul_hi_u32 v5, v4, v5
	v_add_nc_u32_e32 v4, v4, v5
	v_mul_hi_u32 v4, v7, v4
	v_mul_lo_u32 v5, v4, s24
	v_add_nc_u32_e32 v6, 1, v4
	v_sub_nc_u32_e32 v5, v7, v5
	v_subrev_nc_u32_e32 v10, s24, v5
	v_cmp_le_u32_e32 vcc_lo, s24, v5
	v_cndmask_b32_e32 v5, v5, v10, vcc_lo
	v_cndmask_b32_e32 v4, v4, v6, vcc_lo
	v_cmp_le_u32_e32 vcc_lo, s24, v5
	v_add_nc_u32_e32 v6, 1, v4
	v_cndmask_b32_e32 v5, v4, v6, vcc_lo
	v_mov_b32_e32 v6, v3
.LBB0_6:                                ;   in Loop: Header=BB0_2 Depth=1
	s_or_b32 exec_lo, exec_lo, s0
	v_mul_lo_u32 v4, v6, s24
	v_mul_lo_u32 v12, v5, s25
	s_load_dwordx2 s[0:1], s[6:7], 0x0
	v_mad_u64_u32 v[10:11], null, v5, s24, 0
	s_load_dwordx2 s[24:25], s[2:3], 0x0
	s_add_u32 s22, s22, 1
	s_addc_u32 s23, s23, 0
	s_add_u32 s2, s2, 8
	s_addc_u32 s3, s3, 0
	s_add_u32 s6, s6, 8
	v_add3_u32 v4, v11, v12, v4
	v_sub_co_u32 v7, vcc_lo, v7, v10
	s_addc_u32 s7, s7, 0
	s_add_u32 s20, s20, 8
	v_sub_co_ci_u32_e32 v4, vcc_lo, v8, v4, vcc_lo
	s_addc_u32 s21, s21, 0
	s_waitcnt lgkmcnt(0)
	v_mul_lo_u32 v8, s0, v4
	v_mul_lo_u32 v10, s1, v7
	v_mad_u64_u32 v[15:16], null, s0, v7, v[15:16]
	v_mul_lo_u32 v4, s24, v4
	v_mul_lo_u32 v11, s25, v7
	v_mad_u64_u32 v[1:2], null, s24, v7, v[1:2]
	v_cmp_ge_u64_e64 s0, s[22:23], s[14:15]
	v_add3_u32 v16, v10, v16, v8
	v_add3_u32 v2, v11, v2, v4
	s_and_b32 vcc_lo, exec_lo, s0
	s_cbranch_vccnz .LBB0_9
; %bb.7:                                ;   in Loop: Header=BB0_2 Depth=1
	v_mov_b32_e32 v8, v6
	v_mov_b32_e32 v7, v5
	s_branch .LBB0_2
.LBB0_8:
	v_mov_b32_e32 v1, v15
	v_mov_b32_e32 v5, v7
	;; [unrolled: 1-line block ×4, first 2 shown]
.LBB0_9:
	s_load_dwordx2 s[0:1], s[4:5], 0x28
	s_lshl_b64 s[4:5], s[14:15], 3
	v_and_b32_e32 v3, 1, v0
	s_add_u32 s2, s18, s4
	s_addc_u32 s3, s19, s5
                                        ; implicit-def: $vgpr8
                                        ; implicit-def: $vgpr12
                                        ; implicit-def: $vgpr14
                                        ; implicit-def: $vgpr10
                                        ; implicit-def: $vgpr7
	s_waitcnt lgkmcnt(0)
	v_cmp_gt_u64_e32 vcc_lo, s[0:1], v[5:6]
	v_cmp_le_u64_e64 s0, s[0:1], v[5:6]
	s_and_saveexec_b32 s1, s0
	s_xor_b32 s0, exec_lo, s1
; %bb.10:
	v_and_b32_e32 v3, 1, v0
                                        ; implicit-def: $vgpr15_vgpr16
	v_or_b32_e32 v8, 2, v3
	v_or_b32_e32 v12, 4, v3
	;; [unrolled: 1-line block ×5, first 2 shown]
; %bb.11:
	s_or_saveexec_b32 s1, s0
	v_mul_u32_u24_e32 v0, 27, v9
	v_lshlrev_b32_e32 v4, 2, v0
	s_xor_b32 exec_lo, exec_lo, s1
	s_cbranch_execz .LBB0_13
; %bb.12:
	s_add_u32 s4, s16, s4
	s_addc_u32 s5, s17, s5
	v_lshlrev_b32_e32 v11, 2, v3
	s_load_dwordx2 s[4:5], s[4:5], 0x0
	v_or_b32_e32 v12, 4, v3
	v_or_b32_e32 v14, 6, v3
	s_waitcnt lgkmcnt(0)
	v_mul_lo_u32 v0, s5, v5
	v_mul_lo_u32 v9, s4, v6
	v_mad_u64_u32 v[7:8], null, s4, v5, 0
	v_add3_u32 v8, v8, v9, v0
	v_lshlrev_b64 v[9:10], 2, v[15:16]
	v_lshlrev_b64 v[7:8], 2, v[7:8]
	v_add_co_u32 v0, s0, s8, v7
	v_add_co_ci_u32_e64 v7, s0, s9, v8, s0
	v_add_co_u32 v0, s0, v0, v9
	v_add_co_ci_u32_e64 v8, s0, v7, v10, s0
	v_or_b32_e32 v10, 8, v3
	v_add_co_u32 v7, s0, v0, v11
	v_add_co_ci_u32_e64 v8, s0, 0, v8, s0
	v_add3_u32 v11, 0, v4, v11
	s_clause 0xc
	global_load_dword v0, v[7:8], off
	global_load_dword v9, v[7:8], off offset:8
	global_load_dword v13, v[7:8], off offset:16
	;; [unrolled: 1-line block ×12, first 2 shown]
	v_or_b32_e32 v8, 2, v3
	v_or_b32_e32 v7, 10, v3
	s_waitcnt vmcnt(11)
	ds_write2_b32 v11, v0, v9 offset1:2
	s_waitcnt vmcnt(9)
	ds_write2_b32 v11, v13, v15 offset0:4 offset1:6
	s_waitcnt vmcnt(7)
	ds_write2_b32 v11, v16, v17 offset0:8 offset1:10
	;; [unrolled: 2-line block ×5, first 2 shown]
	s_waitcnt vmcnt(0)
	ds_write_b32 v11, v24 offset:96
.LBB0_13:
	s_or_b32 exec_lo, exec_lo, s1
	v_lshlrev_b32_e32 v31, 2, v3
	v_add_nc_u32_e32 v0, 0, v4
	s_load_dwordx2 s[4:5], s[2:3], 0x0
	s_waitcnt lgkmcnt(0)
	s_barrier
	v_add3_u32 v32, 0, v31, v4
	v_add_nc_u32_e32 v30, v0, v31
	buffer_gl0_inv
	v_mov_b32_e32 v9, 0xb770
	v_mov_b32_e32 v29, 0xbbf1
	ds_read2_b32 v[15:16], v32 offset0:2 offset1:4
	ds_read_b32 v4, v30
	ds_read2_b32 v[19:20], v32 offset0:22 offset1:24
	ds_read2_b32 v[21:22], v32 offset0:6 offset1:8
	;; [unrolled: 1-line block ×5, first 2 shown]
	v_mov_b32_e32 v11, 0xbb7b
	v_mov_b32_e32 v34, 0xba95
	;; [unrolled: 1-line block ×4, first 2 shown]
	s_waitcnt lgkmcnt(0)
	s_barrier
	buffer_gl0_inv
	v_cmp_ne_u32_e64 s1, 0, v3
	v_cmp_eq_u32_e64 s0, 0, v3
	v_pk_add_f16 v36, v4, v15
	v_pk_add_f16 v17, v15, v20 neg_lo:[0,1] neg_hi:[0,1]
	v_pk_add_f16 v18, v20, v15
	v_pk_add_f16 v15, v19, v16
	v_pk_add_f16 v13, v16, v19 neg_lo:[0,1] neg_hi:[0,1]
	v_pk_add_f16 v16, v36, v16
	v_mul_f16_sdwa v9, v17, v9 dst_sel:DWORD dst_unused:UNUSED_PAD src0_sel:WORD_1 src1_sel:DWORD
	v_pk_mul_f16 v36, 0x3b15388b, v18
	v_lshrrev_b32_e32 v37, 16, v18
	v_mul_f16_e32 v38, 0xba95, v17
	v_pk_add_f16 v16, v16, v21
	v_fma_f16 v48, v18, 0x3b15, -v9
	v_fmac_f16_e32 v9, 0x3b15, v18
	v_mul_f16_sdwa v39, v17, v29 dst_sel:DWORD dst_unused:UNUSED_PAD src0_sel:WORD_1 src1_sel:DWORD
	v_mul_f16_e32 v40, 0xbbf1, v17
	v_pk_add_f16 v16, v16, v22
	v_mul_f16_sdwa v41, v17, v11 dst_sel:DWORD dst_unused:UNUSED_PAD src0_sel:WORD_1 src1_sel:DWORD
	v_mul_f16_e32 v42, 0xbb7b, v17
	v_mul_f16_e32 v43, 0xb94e, v17
	v_mul_f16_sdwa v44, v13, v34 dst_sel:DWORD dst_unused:UNUSED_PAD src0_sel:WORD_1 src1_sel:DWORD
	v_pk_add_f16 v16, v16, v23
	v_pk_mul_f16 v45, 0x388bb5ac, v15
	v_pk_fma_f16 v49, 0xba95b770, v17, v36 op_sel:[0,0,1] op_sel_hi:[1,1,0] neg_lo:[0,1,0] neg_hi:[0,1,0]
	v_pk_fma_f16 v36, 0xba95b770, v17, v36 op_sel:[0,0,1] op_sel_hi:[1,1,0]
	v_add_f16_e32 v57, v4, v9
	v_pk_add_f16 v16, v16, v24
	v_lshrrev_b32_e32 v46, 16, v15
	v_mul_f16_e32 v47, 0xbb7b, v13
	v_fmamk_f16 v50, v37, 0x388b, v38
	v_fma_f16 v38, v37, 0x388b, -v38
	v_pk_add_f16 v16, v16, v25
	v_fma_f16 v51, v18, 0x2fb7, -v39
	v_fmamk_f16 v52, v37, 0x2fb7, v40
	v_fma_f16 v40, v37, 0x2fb7, -v40
	v_fma_f16 v53, v18, 0xb5ac, -v41
	v_pk_add_f16 v16, v16, v26
	v_fmamk_f16 v54, v37, 0xb5ac, v42
	v_fma_f16 v42, v37, 0xb5ac, -v42
	v_fmamk_f16 v55, v37, 0xb9fd, v43
	v_fma_f16 v37, v37, 0xb9fd, -v43
	v_pk_add_f16 v16, v16, v27
	v_fma_f16 v43, v15, 0x388b, -v44
	v_pk_fma_f16 v56, 0xbb7bba95, v13, v45 op_sel:[0,0,1] op_sel_hi:[1,1,0] neg_lo:[0,1,0] neg_hi:[0,1,0]
	v_pk_fma_f16 v45, 0xbb7bba95, v13, v45 op_sel:[0,0,1] op_sel_hi:[1,1,0]
	v_add_f16_e32 v48, v4, v48
	v_pk_add_f16 v9, v16, v28
	v_bfi_b32 v58, 0xffff, v36, v49
	v_add_f16_sdwa v50, v4, v50 dst_sel:DWORD dst_unused:UNUSED_PAD src0_sel:WORD_1 src1_sel:DWORD
	v_pk_add_f16 v36, v4, v36 op_sel:[1,0] op_sel_hi:[0,1]
	v_add_f16_sdwa v16, v4, v38 dst_sel:DWORD dst_unused:UNUSED_PAD src0_sel:WORD_1 src1_sel:DWORD
	v_pk_add_f16 v9, v9, v19
	v_add_f16_e32 v38, v4, v51
	v_add_f16_sdwa v51, v4, v52 dst_sel:DWORD dst_unused:UNUSED_PAD src0_sel:WORD_1 src1_sel:DWORD
	v_add_f16_sdwa v19, v4, v40 dst_sel:DWORD dst_unused:UNUSED_PAD src0_sel:WORD_1 src1_sel:DWORD
	v_add_f16_e32 v40, v4, v53
	v_add_f16_sdwa v52, v4, v54 dst_sel:DWORD dst_unused:UNUSED_PAD src0_sel:WORD_1 src1_sel:DWORD
	v_pk_add_f16 v9, v9, v20
	v_bfi_b32 v20, 0xffff, v45, v56
	v_pk_add_f16 v53, v4, v58 op_sel:[1,0] op_sel_hi:[0,1]
	v_fmamk_f16 v54, v46, 0xb5ac, v47
	v_add_f16_e32 v43, v43, v48
	v_mul_f16_sdwa v48, v13, v35 dst_sel:DWORD dst_unused:UNUSED_PAD src0_sel:WORD_1 src1_sel:DWORD
	v_fma_f16 v47, v46, 0xb5ac, -v47
	v_pk_add_f16 v20, v20, v53
	v_add_f16_e32 v50, v54, v50
	v_mul_f16_e32 v53, 0xb3a8, v13
	v_pk_add_f16 v36, v45, v36
	v_fma_f16 v45, v15, 0xbbc4, -v48
	v_mov_b32_e32 v54, 0x394e
	v_add_f16_e32 v16, v47, v16
	v_fmamk_f16 v47, v46, 0xbbc4, v53
	v_fmac_f16_e32 v39, 0x2fb7, v18
	v_add_f16_e32 v38, v45, v38
	v_mul_f16_sdwa v45, v13, v54 dst_sel:DWORD dst_unused:UNUSED_PAD src0_sel:WORD_1 src1_sel:DWORD
	v_fmac_f16_e32 v44, 0x388b, v15
	v_add_f16_e32 v47, v47, v51
	v_fma_f16 v51, v46, 0xbbc4, -v53
	v_mul_f16_e32 v53, 0x394e, v13
	v_fma_f16 v54, v15, 0xb9fd, -v45
	v_fmac_f16_e32 v41, 0xb5ac, v18
	v_add_f16_e32 v39, v4, v39
	v_add_f16_e32 v44, v44, v57
	v_mul_f16_sdwa v57, v17, v33 dst_sel:DWORD dst_unused:UNUSED_PAD src0_sel:WORD_1 src1_sel:DWORD
	v_fmac_f16_e32 v48, 0xbbc4, v15
	v_add_f16_e32 v19, v51, v19
	v_fmamk_f16 v51, v46, 0xb9fd, v53
	v_add_f16_e32 v40, v54, v40
	v_mov_b32_e32 v54, 0x3bf1
	v_add_f16_e32 v41, v4, v41
	v_add_f16_e32 v39, v48, v39
	v_fma_f16 v48, v18, 0xb9fd, -v57
	v_add_f16_e32 v51, v51, v52
	v_fmac_f16_e32 v45, 0xb9fd, v15
	v_mul_f16_sdwa v52, v13, v54 dst_sel:DWORD dst_unused:UNUSED_PAD src0_sel:WORD_1 src1_sel:DWORD
	v_add_f16_sdwa v42, v4, v42 dst_sel:DWORD dst_unused:UNUSED_PAD src0_sel:WORD_1 src1_sel:DWORD
	v_add_f16_e32 v48, v4, v48
	v_fma_f16 v53, v46, 0xb9fd, -v53
	v_add_f16_e32 v41, v45, v41
	v_fma_f16 v45, v15, 0x2fb7, -v52
	v_mul_f16_e32 v54, 0x3bf1, v13
	v_add_f16_sdwa v37, v4, v37 dst_sel:DWORD dst_unused:UNUSED_PAD src0_sel:WORD_1 src1_sel:DWORD
	v_add_f16_e32 v42, v53, v42
	v_fmac_f16_e32 v57, 0xb9fd, v18
	v_add_f16_e32 v45, v45, v48
	v_pk_add_f16 v48, v21, v28 neg_lo:[0,1] neg_hi:[0,1]
	v_fmamk_f16 v53, v46, 0x2fb7, v54
	v_fma_f16 v46, v46, 0x2fb7, -v54
	v_pk_add_f16 v21, v28, v21
	v_add_f16_sdwa v55, v4, v55 dst_sel:DWORD dst_unused:UNUSED_PAD src0_sel:WORD_1 src1_sel:DWORD
	v_mul_f16_sdwa v28, v48, v29 dst_sel:DWORD dst_unused:UNUSED_PAD src0_sel:WORD_1 src1_sel:DWORD
	v_add_f16_e32 v57, v4, v57
	v_add_f16_e32 v37, v46, v37
	v_pk_mul_f16 v54, 0x2fb7bbc4, v21
	v_fmac_f16_e32 v52, 0x2fb7, v15
	v_fma_f16 v46, v21, 0x2fb7, -v28
	v_fmac_f16_e32 v28, 0x2fb7, v21
	v_add_f16_e32 v53, v53, v55
	v_lshrrev_b32_e32 v55, 16, v21
	v_add_f16_e32 v52, v52, v57
	v_add_f16_e32 v43, v46, v43
	;; [unrolled: 1-line block ×3, first 2 shown]
	v_pk_fma_f16 v44, 0xb3a8bbf1, v48, v54 op_sel:[0,0,1] op_sel_hi:[1,1,0] neg_lo:[0,1,0] neg_hi:[0,1,0]
	v_pk_fma_f16 v46, 0xb3a8bbf1, v48, v54 op_sel:[0,0,1] op_sel_hi:[1,1,0]
	v_pk_add_f16 v54, v27, v22
	v_pk_add_f16 v22, v22, v27 neg_lo:[0,1] neg_hi:[0,1]
	v_pk_add_f16 v27, v26, v23
	v_pk_add_f16 v23, v23, v26 neg_lo:[0,1] neg_hi:[0,1]
	;; [unrolled: 2-line block ×3, first 2 shown]
	v_bfi_b32 v25, 0xffff, v46, v44
	v_mul_f16_e32 v57, 0xb3a8, v48
	v_pk_add_f16 v36, v46, v36
	v_mul_f16_sdwa v29, v22, v29 dst_sel:DWORD dst_unused:UNUSED_PAD src0_sel:WORD_1 src1_sel:DWORD
	v_add_f16_sdwa v49, v4, v49 dst_sel:DWORD dst_unused:UNUSED_PAD src0_sel:WORD_1 src1_sel:DWORD
	v_pk_add_f16 v20, v25, v20
	v_fmamk_f16 v25, v55, 0xbbc4, v57
	v_fma_f16 v57, v55, 0xbbc4, -v57
	v_mul_f16_sdwa v35, v24, v35 dst_sel:DWORD dst_unused:UNUSED_PAD src0_sel:WORD_1 src1_sel:DWORD
	v_add_f16_e32 v49, v56, v49
	v_mul_f16_e32 v56, 0x3770, v24
	v_add_f16_e32 v25, v25, v50
	v_mov_b32_e32 v50, 0x3b7b
	v_add_f16_e32 v16, v57, v16
	v_mul_f16_e32 v57, 0x3b7b, v48
	v_add_f16_e32 v44, v44, v49
	v_pk_mul_f16 v49, 0xbbc43b15, v26
	v_mul_f16_sdwa v50, v48, v50 dst_sel:DWORD dst_unused:UNUSED_PAD src0_sel:WORD_1 src1_sel:DWORD
	v_pk_mul_f16 v18, 0xbbc4, v18 op_sel_hi:[0,1]
	v_pk_mul_f16 v15, 0x3b15, v15 op_sel_hi:[0,1]
	v_fma_f16 v46, v21, 0xb5ac, -v50
	v_fmac_f16_e32 v50, 0xb5ac, v21
	v_add_f16_e32 v38, v46, v38
	v_fmamk_f16 v46, v55, 0xb5ac, v57
	v_add_f16_e32 v39, v50, v39
	v_fma_f16 v50, v55, 0xb5ac, -v57
	v_add_f16_e32 v46, v46, v47
	v_mov_b32_e32 v47, 0x3770
	v_add_f16_e32 v19, v50, v19
	v_mul_f16_sdwa v57, v48, v47 dst_sel:DWORD dst_unused:UNUSED_PAD src0_sel:WORD_1 src1_sel:DWORD
	v_fma_f16 v50, v21, 0x3b15, -v57
	v_fmac_f16_e32 v57, 0x3b15, v21
	v_add_f16_e32 v40, v50, v40
	v_mul_f16_e32 v50, 0x3770, v48
	v_add_f16_e32 v41, v57, v41
	v_mul_f16_sdwa v57, v48, v34 dst_sel:DWORD dst_unused:UNUSED_PAD src0_sel:WORD_1 src1_sel:DWORD
	v_mul_f16_sdwa v34, v23, v34 dst_sel:DWORD dst_unused:UNUSED_PAD src0_sel:WORD_1 src1_sel:DWORD
	v_fmamk_f16 v58, v55, 0x3b15, v50
	v_fma_f16 v50, v55, 0x3b15, -v50
	v_add_f16_e32 v51, v58, v51
	v_add_f16_e32 v42, v50, v42
	v_fma_f16 v50, v21, 0x388b, -v57
	v_fmac_f16_e32 v57, 0x388b, v21
	v_add_f16_e32 v45, v50, v45
	v_mul_f16_e32 v50, 0xba95, v48
	v_add_f16_e32 v52, v57, v52
	v_fmamk_f16 v58, v55, 0x388b, v50
	v_fma_f16 v50, v55, 0x388b, -v50
	v_mul_f16_sdwa v55, v22, v11 dst_sel:DWORD dst_unused:UNUSED_PAD src0_sel:WORD_1 src1_sel:DWORD
	v_mul_f16_sdwa v11, v24, v11 dst_sel:DWORD dst_unused:UNUSED_PAD src0_sel:WORD_1 src1_sel:DWORD
	v_add_f16_e32 v53, v58, v53
	v_add_f16_e32 v37, v50, v37
	v_fma_f16 v57, v54, 0xb5ac, -v55
	v_pk_mul_f16 v50, 0xb5acb9fd, v54
	v_fmac_f16_e32 v55, 0xb5ac, v54
	v_mul_f16_e32 v58, 0x394e, v22
	v_add_f16_e32 v43, v57, v43
	v_pk_fma_f16 v57, 0x394ebb7b, v22, v50 op_sel:[0,0,1] op_sel_hi:[1,1,0] neg_lo:[0,1,0] neg_hi:[0,1,0]
	v_pk_fma_f16 v50, 0x394ebb7b, v22, v50 op_sel:[0,0,1] op_sel_hi:[1,1,0]
	v_add_f16_e32 v28, v55, v28
	v_bfi_b32 v55, 0xffff, v50, v57
	v_pk_add_f16 v36, v50, v36
	v_pk_add_f16 v20, v55, v20
	v_lshrrev_b32_e32 v55, 16, v54
	v_fma_f16 v50, v55, 0xb9fd, -v58
	v_fmamk_f16 v59, v55, 0xb9fd, v58
	v_add_f16_e32 v16, v50, v16
	v_mul_f16_sdwa v50, v22, v47 dst_sel:DWORD dst_unused:UNUSED_PAD src0_sel:WORD_1 src1_sel:DWORD
	v_add_f16_e32 v25, v59, v25
	v_fma_f16 v58, v54, 0x3b15, -v50
	v_fmac_f16_e32 v50, 0x3b15, v54
	v_add_f16_e32 v38, v58, v38
	v_mul_f16_e32 v58, 0x3770, v22
	v_add_f16_e32 v39, v50, v39
	v_fma_f16 v50, v55, 0x3b15, -v58
	v_fmamk_f16 v59, v55, 0x3b15, v58
	v_add_f16_e32 v19, v50, v19
	v_fma_f16 v50, v54, 0x2fb7, -v29
	v_fmac_f16_e32 v29, 0x2fb7, v54
	v_add_f16_e32 v46, v59, v46
	v_add_f16_e32 v40, v50, v40
	v_mul_f16_e32 v50, 0xbbf1, v22
	v_add_f16_e32 v29, v29, v41
	v_fmamk_f16 v58, v55, 0x2fb7, v50
	v_fma_f16 v41, v55, 0x2fb7, -v50
	v_mov_b32_e32 v50, 0x33a8
	v_add_f16_e32 v51, v58, v51
	v_add_f16_e32 v41, v41, v42
	v_mul_f16_sdwa v42, v22, v50 dst_sel:DWORD dst_unused:UNUSED_PAD src0_sel:WORD_1 src1_sel:DWORD
	v_fma_f16 v58, v54, 0xbbc4, -v42
	v_fmac_f16_e32 v42, 0xbbc4, v54
	v_add_f16_e32 v45, v58, v45
	v_mul_f16_e32 v58, 0x33a8, v22
	v_add_f16_e32 v42, v42, v52
	v_fmamk_f16 v59, v55, 0xbbc4, v58
	v_fma_f16 v52, v55, 0xbbc4, -v58
	v_mul_f16_sdwa v55, v23, v33 dst_sel:DWORD dst_unused:UNUSED_PAD src0_sel:WORD_1 src1_sel:DWORD
	v_mul_f16_sdwa v33, v24, v33 dst_sel:DWORD dst_unused:UNUSED_PAD src0_sel:WORD_1 src1_sel:DWORD
	v_add_f16_e32 v53, v59, v53
	v_add_f16_e32 v37, v52, v37
	v_fma_f16 v52, v27, 0xb9fd, -v55
	v_fmac_f16_e32 v55, 0xb9fd, v27
	v_mul_f16_e32 v59, 0x3bf1, v23
	v_add_f16_e32 v43, v52, v43
	v_pk_mul_f16 v52, 0xb9fd2fb7, v27
	v_add_f16_e32 v28, v55, v28
	v_pk_fma_f16 v55, 0x3bf1b94e, v23, v52 op_sel:[0,0,1] op_sel_hi:[1,1,0] neg_lo:[0,1,0] neg_hi:[0,1,0]
	v_pk_fma_f16 v52, 0x3bf1b94e, v23, v52 op_sel:[0,0,1] op_sel_hi:[1,1,0]
	v_bfi_b32 v58, 0xffff, v52, v55
	v_pk_add_f16 v20, v58, v20
	v_lshrrev_b32_e32 v58, 16, v27
	v_fmamk_f16 v60, v58, 0x2fb7, v59
	v_fma_f16 v59, v58, 0x2fb7, -v59
	v_add_f16_e32 v25, v60, v25
	v_add_f16_e32 v16, v59, v16
	v_fma_f16 v59, v27, 0x388b, -v34
	v_fmac_f16_e32 v34, 0x388b, v27
	v_add_f16_e32 v59, v59, v38
	v_add_f16_e32 v34, v34, v39
	v_mul_f16_sdwa v39, v23, v50 dst_sel:DWORD dst_unused:UNUSED_PAD src0_sel:WORD_1 src1_sel:DWORD
	v_mul_f16_e32 v38, 0xba95, v23
	v_fma_f16 v50, v27, 0xbbc4, -v39
	v_fmac_f16_e32 v39, 0xbbc4, v27
	v_fmamk_f16 v60, v58, 0x388b, v38
	v_add_f16_e32 v40, v50, v40
	v_mul_f16_e32 v50, 0x33a8, v23
	v_add_f16_e32 v29, v39, v29
	v_add_f16_e32 v46, v60, v46
	v_fma_f16 v39, v58, 0xbbc4, -v50
	v_fmamk_f16 v60, v58, 0xbbc4, v50
	v_add_f16_e32 v39, v39, v41
	v_mul_f16_sdwa v41, v23, v47 dst_sel:DWORD dst_unused:UNUSED_PAD src0_sel:WORD_1 src1_sel:DWORD
	v_add_f16_e32 v51, v60, v51
	v_fma_f16 v47, v27, 0x3b15, -v41
	v_fmac_f16_e32 v41, 0x3b15, v27
	v_add_f16_e32 v45, v47, v45
	v_mul_f16_e32 v47, 0x3770, v23
	v_add_f16_e32 v41, v41, v42
	v_fmamk_f16 v50, v58, 0x3b15, v47
	v_add_f16_e32 v50, v50, v53
	v_fma_f16 v53, v58, 0x388b, -v38
	v_fma_f16 v38, v58, 0x3b15, -v47
	;; [unrolled: 1-line block ×3, first 2 shown]
	v_fmac_f16_e32 v35, 0xbbc4, v26
	v_mad_u32_u24 v58, v3, 48, v32
	v_add_f16_e32 v37, v38, v37
	v_add_f16_e32 v42, v47, v43
	v_pk_fma_f16 v38, 0x3770b3a8, v24, v49 op_sel:[0,0,1] op_sel_hi:[1,1,0] neg_lo:[0,1,0] neg_hi:[0,1,0]
	v_add_f16_e32 v43, v57, v44
	v_pk_fma_f16 v44, 0x3770b3a8, v24, v49 op_sel:[0,0,1] op_sel_hi:[1,1,0]
	v_lshrrev_b32_e32 v47, 16, v26
	v_mul_f16_e32 v57, 0x3a95, v24
	v_add_f16_e32 v43, v55, v43
	v_bfi_b32 v44, 0xffff, v44, v38
	v_fmamk_f16 v55, v47, 0x3b15, v56
	v_add_f16_e32 v38, v38, v43
	v_pk_add_f16 v20, v44, v20
	v_add_f16_e32 v25, v55, v25
	v_fma_f16 v43, v47, 0x3b15, -v56
	v_fma_f16 v44, v26, 0xb9fd, -v33
	v_mul_f16_e32 v55, 0xb9fd, v47
	v_mov_b32_e32 v56, 0x3a95
	v_fmac_f16_e32 v33, 0xb9fd, v26
	v_add_f16_e32 v43, v43, v16
	v_add_f16_e32 v44, v44, v59
	v_fmamk_f16 v16, v24, 0xb94e, v55
	v_mul_f16_sdwa v56, v24, v56 dst_sel:DWORD dst_unused:UNUSED_PAD src0_sel:WORD_1 src1_sel:DWORD
	v_add_f16_e32 v33, v33, v34
	v_fmamk_f16 v34, v47, 0x388b, v57
	v_alignbit_b32 v25, v25, v20, 16
	v_add_f16_e32 v46, v16, v46
	v_fma_f16 v16, v26, 0x388b, -v56
	v_fmac_f16_e32 v56, 0x388b, v26
	v_add_f16_e32 v34, v34, v51
	v_mul_f16_e32 v51, 0xbb7b, v24
	v_pack_b32_f16 v20, v42, v20
	v_add_f16_e32 v40, v16, v40
	v_fma_f16 v16, v47, 0x388b, -v57
	v_add_f16_e32 v29, v56, v29
	v_fma_f16 v56, v26, 0xb5ac, -v11
	v_fmamk_f16 v57, v47, 0xb5ac, v51
	v_fmac_f16_e32 v11, 0xb5ac, v26
	v_add_f16_e32 v39, v16, v39
	v_add_f16_e32 v16, v35, v28
	v_add_f16_e32 v28, v56, v45
	v_add_f16_e32 v45, v57, v50
	v_pk_fma_f16 v50, 0xb3a8, v17, v18 op_sel:[0,0,1] op_sel_hi:[0,1,0] neg_lo:[0,1,0] neg_hi:[0,1,0]
	v_pk_fma_f16 v17, 0xb3a8, v17, v18 op_sel:[0,0,1] op_sel_hi:[0,1,0]
	v_add_f16_e32 v11, v11, v41
	v_fma_f16 v41, v47, 0xb5ac, -v51
	v_mul_f16_e32 v18, 0xb94e, v24
	v_pk_add_f16 v47, v4, v50 op_sel:[1,0] op_sel_hi:[0,1]
	v_pk_add_f16 v4, v4, v17 op_sel:[1,0] op_sel_hi:[0,1]
	v_pk_fma_f16 v17, 0x3770, v13, v15 op_sel:[0,0,1] op_sel_hi:[0,1,0] neg_lo:[0,1,0] neg_hi:[0,1,0]
	v_pk_fma_f16 v13, 0x3770, v13, v15 op_sel:[0,0,1] op_sel_hi:[0,1,0]
	v_pk_mul_f16 v15, 0xb9fd, v21 op_sel_hi:[0,1]
	v_add_f16_e32 v21, v41, v37
	v_pk_mul_f16 v37, 0x388b, v54 op_sel_hi:[0,1]
	v_pk_add_f16 v17, v17, v47
	v_pk_add_f16 v4, v13, v4
	v_pk_fma_f16 v13, 0xb94e, v48, v15 op_sel:[0,0,1] op_sel_hi:[0,1,0] neg_lo:[0,1,0] neg_hi:[0,1,0]
	v_pk_fma_f16 v15, 0xb94e, v48, v15 op_sel:[0,0,1] op_sel_hi:[0,1,0]
	v_pk_mul_f16 v35, 0x3770b3a8, v24
	v_pack_b32_f16 v11, v11, v21
	v_pk_add_f16 v13, v13, v17
	v_pk_add_f16 v4, v15, v4
	v_pk_fma_f16 v15, 0x3a95, v22, v37 op_sel:[0,0,1] op_sel_hi:[0,1,0] neg_lo:[0,1,0] neg_hi:[0,1,0]
	v_pk_mul_f16 v17, 0xb5ac, v27 op_sel_hi:[0,1]
	v_pk_fma_f16 v22, 0x3a95, v22, v37 op_sel:[0,0,1] op_sel_hi:[0,1,0]
	v_bfi_b32 v19, 0xffff, v19, v35
	v_lshl_add_u32 v37, v8, 2, v0
	v_pk_add_f16 v13, v15, v13
	v_pk_fma_f16 v15, 0xbb7b, v23, v17 op_sel:[0,0,1] op_sel_hi:[0,1,0] neg_lo:[0,1,0] neg_hi:[0,1,0]
	v_pk_add_f16 v4, v22, v4
	v_pk_fma_f16 v17, 0xbb7b, v23, v17 op_sel:[0,0,1] op_sel_hi:[0,1,0]
	v_pk_mul_f16 v22, 0x2fb7, v26 op_sel_hi:[0,1]
	v_pk_add_f16 v26, v52, v36
	v_pk_add_f16 v13, v15, v13
	v_bfi_b32 v15, 0xffff, v18, v36
	v_pk_add_f16 v4, v17, v4
	v_pk_fma_f16 v17, 0x3bf1, v24, v22 op_sel:[0,0,1] op_sel_hi:[0,1,0] neg_lo:[0,1,0] neg_hi:[0,1,0]
	v_pack_b32_f16 v18, v53, v49
	v_pk_fma_f16 v22, 0x3bf1, v24, v22 op_sel:[0,0,1] op_sel_hi:[0,1,0]
	v_pk_add_f16 v15, v55, v15 neg_lo:[0,1] neg_hi:[0,1]
	v_pack_b32_f16 v23, v40, v34
	v_pk_add_f16 v13, v17, v13
	v_pk_add_f16 v17, v18, v19
	;; [unrolled: 1-line block ×3, first 2 shown]
	v_bfi_b32 v15, 0xffff, v15, v26
	v_pack_b32_f16 v24, v44, v46
	v_pack_b32_f16 v18, v28, v45
	v_lshl_add_u32 v36, v12, 2, v0
	v_lshl_add_u32 v35, v14, 2, v0
	v_pk_add_f16 v15, v15, v17
	v_alignbit_b32 v17, v13, v4, 16
	v_alignbit_b32 v4, v4, v13, 16
	v_pack_b32_f16 v13, v29, v39
	ds_write2_b32 v58, v20, v25 offset0:1 offset1:2
	ds_write2_b32 v58, v24, v23 offset0:3 offset1:4
	v_alignbit_b32 v19, v43, v15, 16
	v_pack_b32_f16 v15, v33, v15
	v_pack_b32_f16 v20, v16, v38
	v_lshl_add_u32 v34, v10, 2, v0
	ds_write2_b32 v58, v9, v18 offset1:5
	ds_write2_b32 v58, v4, v17 offset0:6 offset1:7
	ds_write2_b32 v58, v11, v13 offset0:8 offset1:9
	;; [unrolled: 1-line block ×3, first 2 shown]
	ds_write_b32 v58, v20 offset:48
	s_waitcnt lgkmcnt(0)
	s_barrier
	buffer_gl0_inv
	ds_read2_b32 v[22:23], v32 offset0:13 offset1:15
	ds_read2_b32 v[24:25], v32 offset0:17 offset1:19
	;; [unrolled: 1-line block ×3, first 2 shown]
	v_lshl_add_u32 v33, v7, 2, v0
	ds_read_b32 v39, v30
	ds_read_b32 v40, v37
	;; [unrolled: 1-line block ×6, first 2 shown]
	v_mov_b32_e32 v20, 0
	v_mov_b32_e32 v21, 0
                                        ; implicit-def: $vgpr21
	s_and_saveexec_b32 s2, s0
	s_cbranch_execz .LBB0_15
; %bb.14:
	ds_read2_b32 v[16:17], v0 offset0:12 offset1:25
	v_mov_b32_e32 v20, 12
	v_mov_b32_e32 v21, 0
	s_waitcnt lgkmcnt(0)
	v_lshrrev_b32_e32 v38, 16, v16
	v_lshrrev_b32_e32 v21, 16, v17
.LBB0_15:
	s_or_b32 exec_lo, exec_lo, s2
	v_mov_b32_e32 v4, 0
	v_mov_b32_e32 v9, v4
	;; [unrolled: 1-line block ×3, first 2 shown]
	v_lshlrev_b64 v[18:19], 2, v[3:4]
	v_mov_b32_e32 v15, v4
	v_mov_b32_e32 v11, v4
	v_lshlrev_b64 v[45:46], 2, v[8:9]
	v_lshlrev_b64 v[8:9], 2, v[12:13]
	v_add_co_u32 v28, s2, s12, v18
	v_lshlrev_b64 v[47:48], 2, v[14:15]
	v_add_co_ci_u32_e64 v29, s2, s13, v19, s2
	v_add_co_u32 v13, s2, s12, v8
	v_mov_b32_e32 v8, v4
	v_add_co_ci_u32_e64 v14, s2, s13, v9, s2
	v_lshlrev_b64 v[9:10], 2, v[10:11]
	v_add_co_u32 v11, s2, s12, v47
	v_lshlrev_b64 v[7:8], 2, v[7:8]
	v_add_co_ci_u32_e64 v12, s2, s13, v48, s2
	v_add_co_u32 v9, s2, s12, v9
	v_add_co_ci_u32_e64 v10, s2, s13, v10, s2
	v_add_co_u32 v7, s2, s12, v7
	v_add_co_ci_u32_e64 v8, s2, s13, v8, s2
	v_add_co_u32 v18, s2, s12, v45
	v_add_co_ci_u32_e64 v19, s2, s13, v46, s2
	s_clause 0x5
	global_load_dword v4, v[7:8], off
	global_load_dword v15, v[9:10], off
	;; [unrolled: 1-line block ×6, first 2 shown]
	s_waitcnt vmcnt(0) lgkmcnt(0)
	s_barrier
	buffer_gl0_inv
	v_pk_mul_f16 v49, v4, v27 op_sel:[0,1]
	v_pk_mul_f16 v50, v15, v26 op_sel:[0,1]
	;; [unrolled: 1-line block ×6, first 2 shown]
	v_pk_fma_f16 v55, v4, v27, v49 op_sel:[0,0,1] op_sel_hi:[1,1,0] neg_lo:[0,0,1] neg_hi:[0,0,1]
	v_pk_fma_f16 v4, v4, v27, v49 op_sel:[0,0,1] op_sel_hi:[1,0,0]
	v_pk_fma_f16 v27, v15, v26, v50 op_sel:[0,0,1] op_sel_hi:[1,1,0] neg_lo:[0,0,1] neg_hi:[0,0,1]
	v_pk_fma_f16 v15, v15, v26, v50 op_sel:[0,0,1] op_sel_hi:[1,0,0]
	;; [unrolled: 2-line block ×6, first 2 shown]
	v_bfi_b32 v22, 0xffff, v49, v22
	v_bfi_b32 v25, 0xffff, v26, v25
	;; [unrolled: 1-line block ×6, first 2 shown]
	v_pk_add_f16 v22, v39, v22 neg_lo:[0,1] neg_hi:[0,1]
	v_pk_add_f16 v24, v41, v24 neg_lo:[0,1] neg_hi:[0,1]
	;; [unrolled: 1-line block ×6, first 2 shown]
	v_pk_fma_f16 v27, v39, 2.0, v22 op_sel_hi:[1,0,1] neg_lo:[0,0,1] neg_hi:[0,0,1]
	v_pk_fma_f16 v39, v40, 2.0, v23 op_sel_hi:[1,0,1] neg_lo:[0,0,1] neg_hi:[0,0,1]
	;; [unrolled: 1-line block ×6, first 2 shown]
	ds_write2_b32 v32, v27, v22 offset1:13
	ds_write2_b32 v37, v39, v23 offset1:13
	;; [unrolled: 1-line block ×6, first 2 shown]
	s_and_saveexec_b32 s2, s0
	s_cbranch_execz .LBB0_17
; %bb.16:
	v_lshlrev_b32_e32 v4, 2, v20
	global_load_dword v4, v4, s[12:13]
	s_waitcnt vmcnt(0)
	v_mul_f16_sdwa v15, v21, v4 dst_sel:DWORD dst_unused:UNUSED_PAD src0_sel:DWORD src1_sel:WORD_1
	v_mul_f16_sdwa v20, v17, v4 dst_sel:DWORD dst_unused:UNUSED_PAD src0_sel:DWORD src1_sel:WORD_1
	v_fma_f16 v15, v17, v4, -v15
	v_fmac_f16_e32 v20, v21, v4
	v_sub_f16_e32 v4, v16, v15
	v_sub_f16_e32 v15, v38, v20
	v_fma_f16 v16, v16, 2.0, -v4
	v_fma_f16 v17, v38, 2.0, -v15
	v_pack_b32_f16 v4, v4, v15
	v_pack_b32_f16 v16, v16, v17
	ds_write2_b32 v0, v16, v4 offset0:12 offset1:25
.LBB0_17:
	s_or_b32 exec_lo, exec_lo, s2
	s_waitcnt lgkmcnt(0)
	s_barrier
	buffer_gl0_inv
	ds_read_b32 v20, v30
	v_sub_nc_u32_e32 v4, v0, v31
                                        ; implicit-def: $vgpr17
                                        ; implicit-def: $vgpr15
                                        ; implicit-def: $vgpr16
	s_and_saveexec_b32 s2, s1
	s_xor_b32 s1, exec_lo, s2
	s_cbranch_execz .LBB0_19
; %bb.18:
	global_load_dword v17, v[28:29], off offset:52
	ds_read_b32 v15, v4 offset:104
	s_waitcnt lgkmcnt(0)
	v_sub_f16_e32 v16, v20, v15
	v_add_f16_sdwa v21, v15, v20 dst_sel:DWORD dst_unused:UNUSED_PAD src0_sel:WORD_1 src1_sel:WORD_1
	v_sub_f16_sdwa v22, v20, v15 dst_sel:DWORD dst_unused:UNUSED_PAD src0_sel:WORD_1 src1_sel:WORD_1
	v_add_f16_e32 v15, v15, v20
	v_mul_f16_e32 v23, 0.5, v16
	v_mul_f16_e32 v20, 0.5, v21
	;; [unrolled: 1-line block ×3, first 2 shown]
	s_waitcnt vmcnt(0)
	v_lshrrev_b32_e32 v16, 16, v17
	v_mul_f16_e32 v22, v16, v23
	v_fma_f16 v24, v20, v16, v21
	v_fma_f16 v21, v20, v16, -v21
	v_fma_f16 v25, 0.5, v15, v22
	v_fma_f16 v15, v15, 0.5, -v22
	v_fma_f16 v16, -v17, v23, v24
	v_fmac_f16_e32 v25, v17, v20
	v_fma_f16 v15, -v17, v20, v15
	v_fma_f16 v17, -v17, v23, v21
                                        ; implicit-def: $vgpr20
	ds_write_b16 v30, v25
.LBB0_19:
	s_andn2_saveexec_b32 s1, s1
	s_cbranch_execz .LBB0_21
; %bb.20:
	ds_read_u16 v16, v0 offset:54
	s_waitcnt lgkmcnt(1)
	v_add_f16_sdwa v21, v20, v20 dst_sel:DWORD dst_unused:UNUSED_PAD src0_sel:WORD_1 src1_sel:DWORD
	v_sub_f16_sdwa v15, v20, v20 dst_sel:DWORD dst_unused:UNUSED_PAD src0_sel:DWORD src1_sel:WORD_1
	v_mov_b32_e32 v17, 0
	s_waitcnt lgkmcnt(0)
	v_xor_b32_e32 v20, 0x8000, v16
	v_mov_b32_e32 v16, 0
	ds_write_b16 v30, v21
	ds_write_b16 v0, v20 offset:54
.LBB0_21:
	s_or_b32 exec_lo, exec_lo, s1
	s_clause 0x4
	global_load_dword v18, v[18:19], off offset:52
	global_load_dword v13, v[13:14], off offset:52
	;; [unrolled: 1-line block ×5, first 2 shown]
	v_perm_b32 v8, v17, v15, 0x5040100
	ds_write_b16 v30, v16 offset:2
	ds_read_b32 v10, v4 offset:96
	ds_write_b32 v4, v8 offset:104
	ds_read_b32 v8, v37
	s_waitcnt lgkmcnt(0)
	v_pk_add_f16 v12, v8, v10 neg_lo:[0,1] neg_hi:[0,1]
	v_pk_add_f16 v8, v8, v10
	v_bfi_b32 v10, 0xffff, v12, v8
	v_bfi_b32 v8, 0xffff, v8, v12
	v_pk_mul_f16 v10, v10, 0.5 op_sel_hi:[1,0]
	v_pk_mul_f16 v8, v8, 0.5 op_sel_hi:[1,0]
	s_waitcnt vmcnt(4)
	v_pk_fma_f16 v12, v18, v10, v8 op_sel:[1,0,0]
	v_pk_mul_f16 v14, v18, v10 op_sel_hi:[0,1]
	v_pk_fma_f16 v15, v18, v10, v8 op_sel:[1,0,0] neg_lo:[1,0,0] neg_hi:[1,0,0]
	v_pk_fma_f16 v8, v18, v10, v8 op_sel:[1,0,0] neg_lo:[0,0,1] neg_hi:[0,0,1]
	v_pk_add_f16 v10, v12, v14 op_sel:[0,1] op_sel_hi:[1,0]
	v_pk_add_f16 v12, v12, v14 op_sel:[0,1] op_sel_hi:[1,0] neg_lo:[0,1] neg_hi:[0,1]
	v_pk_add_f16 v15, v15, v14 op_sel:[0,1] op_sel_hi:[1,0] neg_lo:[0,1] neg_hi:[0,1]
	v_pk_add_f16 v8, v8, v14 op_sel:[0,1] op_sel_hi:[1,0] neg_lo:[0,1] neg_hi:[0,1]
	v_bfi_b32 v10, 0xffff, v10, v12
	v_bfi_b32 v8, 0xffff, v15, v8
	ds_write_b32 v37, v10
	ds_write_b32 v4, v8 offset:96
	ds_read_b32 v8, v36
	ds_read_b32 v10, v4 offset:88
	s_waitcnt lgkmcnt(0)
	v_pk_add_f16 v12, v8, v10 neg_lo:[0,1] neg_hi:[0,1]
	v_pk_add_f16 v8, v8, v10
	v_bfi_b32 v10, 0xffff, v12, v8
	v_bfi_b32 v8, 0xffff, v8, v12
	v_pk_mul_f16 v10, v10, 0.5 op_sel_hi:[1,0]
	v_pk_mul_f16 v8, v8, 0.5 op_sel_hi:[1,0]
	s_waitcnt vmcnt(3)
	v_pk_mul_f16 v14, v13, v10 op_sel_hi:[0,1]
	v_pk_fma_f16 v12, v13, v10, v8 op_sel:[1,0,0]
	v_pk_fma_f16 v15, v13, v10, v8 op_sel:[1,0,0] neg_lo:[1,0,0] neg_hi:[1,0,0]
	v_pk_fma_f16 v8, v13, v10, v8 op_sel:[1,0,0] neg_lo:[0,0,1] neg_hi:[0,0,1]
	v_pk_add_f16 v10, v12, v14 op_sel:[0,1] op_sel_hi:[1,0]
	v_pk_add_f16 v12, v12, v14 op_sel:[0,1] op_sel_hi:[1,0] neg_lo:[0,1] neg_hi:[0,1]
	v_pk_add_f16 v13, v15, v14 op_sel:[0,1] op_sel_hi:[1,0] neg_lo:[0,1] neg_hi:[0,1]
	v_pk_add_f16 v8, v8, v14 op_sel:[0,1] op_sel_hi:[1,0] neg_lo:[0,1] neg_hi:[0,1]
	v_bfi_b32 v10, 0xffff, v10, v12
	v_bfi_b32 v8, 0xffff, v13, v8
	ds_write_b32 v36, v10
	ds_write_b32 v4, v8 offset:88
	ds_read_b32 v8, v35
	ds_read_b32 v10, v4 offset:80
	s_waitcnt lgkmcnt(0)
	v_pk_add_f16 v12, v8, v10 neg_lo:[0,1] neg_hi:[0,1]
	v_pk_add_f16 v8, v8, v10
	v_bfi_b32 v10, 0xffff, v12, v8
	v_bfi_b32 v8, 0xffff, v8, v12
	v_pk_mul_f16 v10, v10, 0.5 op_sel_hi:[1,0]
	v_pk_mul_f16 v8, v8, 0.5 op_sel_hi:[1,0]
	s_waitcnt vmcnt(2)
	v_pk_mul_f16 v13, v11, v10 op_sel_hi:[0,1]
	v_pk_fma_f16 v12, v11, v10, v8 op_sel:[1,0,0]
	;; [unrolled: 22-line block ×4, first 2 shown]
	v_pk_fma_f16 v12, v7, v9, v8 op_sel:[1,0,0] neg_lo:[1,0,0] neg_hi:[1,0,0]
	v_pk_fma_f16 v7, v7, v9, v8 op_sel:[1,0,0] neg_lo:[0,0,1] neg_hi:[0,0,1]
	v_pk_add_f16 v8, v10, v11 op_sel:[0,1] op_sel_hi:[1,0]
	v_pk_add_f16 v9, v10, v11 op_sel:[0,1] op_sel_hi:[1,0] neg_lo:[0,1] neg_hi:[0,1]
	v_pk_add_f16 v10, v12, v11 op_sel:[0,1] op_sel_hi:[1,0] neg_lo:[0,1] neg_hi:[0,1]
	;; [unrolled: 1-line block ×3, first 2 shown]
	v_bfi_b32 v8, 0xffff, v8, v9
	v_bfi_b32 v7, 0xffff, v10, v7
	ds_write_b32 v33, v8
	ds_write_b32 v4, v7 offset:64
	s_and_saveexec_b32 s1, s0
	s_cbranch_execz .LBB0_23
; %bb.22:
	v_mov_b32_e32 v4, 0
	ds_read2_b32 v[7:8], v0 offset0:12 offset1:14
	global_load_dword v4, v4, s[12:13] offset:100
	s_waitcnt lgkmcnt(0)
	v_pk_add_f16 v9, v7, v8 neg_lo:[0,1] neg_hi:[0,1]
	v_pk_add_f16 v7, v7, v8
	v_bfi_b32 v8, 0xffff, v9, v7
	v_bfi_b32 v7, 0xffff, v7, v9
	v_pk_mul_f16 v8, v8, 0.5 op_sel_hi:[1,0]
	v_pk_mul_f16 v10, v7, 0.5 op_sel_hi:[1,0]
	s_waitcnt vmcnt(0)
	v_pk_mul_f16 v9, v4, v8 op_sel:[1,0]
	v_pk_mul_f16 v4, v4, v8 op_sel_hi:[0,1]
	v_pk_fma_f16 v7, v7, 0.5, v9 op_sel_hi:[1,0,1]
	v_bfi_b32 v8, 0xffff, v10, v9
	v_bfi_b32 v9, 0xffff, v9, v10
	v_pk_add_f16 v10, v7, v4 op_sel:[0,1] op_sel_hi:[1,0]
	v_pk_add_f16 v7, v7, v4 op_sel:[0,1] op_sel_hi:[1,0] neg_lo:[0,1] neg_hi:[0,1]
	v_pk_add_f16 v8, v8, v9 neg_lo:[0,1] neg_hi:[0,1]
	v_bfi_b32 v7, 0xffff, v10, v7
	v_pk_add_f16 v4, v8, v4 op_sel:[0,1] op_sel_hi:[1,0] neg_lo:[0,1] neg_hi:[0,1]
	ds_write2_b32 v0, v7, v4 offset0:12 offset1:14
.LBB0_23:
	s_or_b32 exec_lo, exec_lo, s1
	s_waitcnt lgkmcnt(0)
	s_barrier
	buffer_gl0_inv
	s_and_saveexec_b32 s0, vcc_lo
	s_cbranch_execz .LBB0_26
; %bb.24:
	v_mul_lo_u32 v8, s5, v5
	v_mul_lo_u32 v9, s4, v6
	v_mad_u64_u32 v[6:7], null, s4, v5, 0
	v_lshl_add_u32 v5, v3, 2, v0
	v_mov_b32_e32 v4, 0
	v_lshlrev_b64 v[0:1], 2, v[1:2]
	ds_read2_b32 v[15:16], v5 offset1:2
	ds_read2_b32 v[17:18], v5 offset0:4 offset1:6
	ds_read2_b32 v[19:20], v5 offset0:8 offset1:10
	v_add3_u32 v7, v7, v9, v8
	v_lshlrev_b64 v[13:14], 2, v[3:4]
	v_add_nc_u32_e32 v8, 2, v3
	v_mov_b32_e32 v9, v4
	v_add_nc_u32_e32 v10, 4, v3
	v_lshlrev_b64 v[6:7], 2, v[6:7]
	v_mov_b32_e32 v11, v4
	v_add_nc_u32_e32 v12, 6, v3
	v_lshlrev_b64 v[8:9], 2, v[8:9]
	ds_read2_b32 v[21:22], v5 offset0:12 offset1:14
	v_add_co_u32 v2, vcc_lo, s10, v6
	v_add_co_ci_u32_e32 v6, vcc_lo, s11, v7, vcc_lo
	v_lshlrev_b64 v[10:11], 2, v[10:11]
	v_add_co_u32 v0, vcc_lo, v2, v0
	v_add_co_ci_u32_e32 v1, vcc_lo, v6, v1, vcc_lo
	v_add_co_u32 v6, vcc_lo, v0, v13
	v_add_co_ci_u32_e32 v7, vcc_lo, v1, v14, vcc_lo
	v_mov_b32_e32 v13, v4
	v_add_nc_u32_e32 v14, 10, v3
	s_waitcnt lgkmcnt(3)
	global_store_dword v[6:7], v15, off
	v_add_co_u32 v6, vcc_lo, v0, v8
	v_add_co_ci_u32_e32 v7, vcc_lo, v1, v9, vcc_lo
	v_lshlrev_b64 v[8:9], 2, v[12:13]
	v_add_nc_u32_e32 v12, 8, v3
	v_add_co_u32 v10, vcc_lo, v0, v10
	v_add_co_ci_u32_e32 v11, vcc_lo, v1, v11, vcc_lo
	v_lshlrev_b64 v[12:13], 2, v[12:13]
	v_add_co_u32 v8, vcc_lo, v0, v8
	v_add_co_ci_u32_e32 v9, vcc_lo, v1, v9, vcc_lo
	v_mov_b32_e32 v15, v4
	v_add_co_u32 v12, vcc_lo, v0, v12
	v_add_co_ci_u32_e32 v13, vcc_lo, v1, v13, vcc_lo
	global_store_dword v[6:7], v16, off
	s_waitcnt lgkmcnt(2)
	global_store_dword v[10:11], v17, off
	global_store_dword v[8:9], v18, off
	s_waitcnt lgkmcnt(1)
	global_store_dword v[12:13], v19, off
	v_add_nc_u32_e32 v8, 12, v3
	v_mov_b32_e32 v9, v4
	v_lshlrev_b64 v[6:7], 2, v[14:15]
	v_add_nc_u32_e32 v10, 14, v3
	v_mov_b32_e32 v11, v4
	ds_read2_b32 v[14:15], v5 offset0:16 offset1:18
	v_lshlrev_b64 v[8:9], 2, v[8:9]
	v_add_nc_u32_e32 v12, 16, v3
	v_mov_b32_e32 v13, v4
	v_add_co_u32 v6, vcc_lo, v0, v6
	v_lshlrev_b64 v[10:11], 2, v[10:11]
	v_add_co_ci_u32_e32 v7, vcc_lo, v1, v7, vcc_lo
	v_add_co_u32 v8, vcc_lo, v0, v8
	v_lshlrev_b64 v[12:13], 2, v[12:13]
	v_add_co_ci_u32_e32 v9, vcc_lo, v1, v9, vcc_lo
	v_add_co_u32 v10, vcc_lo, v0, v10
	v_add_co_ci_u32_e32 v11, vcc_lo, v1, v11, vcc_lo
	v_add_co_u32 v12, vcc_lo, v0, v12
	v_add_nc_u32_e32 v16, 18, v3
	v_mov_b32_e32 v17, v4
	v_add_co_ci_u32_e32 v13, vcc_lo, v1, v13, vcc_lo
	global_store_dword v[6:7], v20, off
	s_waitcnt lgkmcnt(1)
	global_store_dword v[8:9], v21, off
	global_store_dword v[10:11], v22, off
	s_waitcnt lgkmcnt(0)
	global_store_dword v[12:13], v14, off
	v_add_nc_u32_e32 v8, 20, v3
	v_mov_b32_e32 v9, v4
	v_lshlrev_b64 v[6:7], 2, v[16:17]
	v_add_nc_u32_e32 v10, 22, v3
	v_mov_b32_e32 v11, v4
	ds_read2_b32 v[12:13], v5 offset0:20 offset1:22
	v_lshlrev_b64 v[8:9], 2, v[8:9]
	v_add_nc_u32_e32 v16, 24, v3
	v_add_co_u32 v6, vcc_lo, v0, v6
	ds_read_b32 v2, v5 offset:96
	v_lshlrev_b64 v[10:11], 2, v[10:11]
	v_add_co_ci_u32_e32 v7, vcc_lo, v1, v7, vcc_lo
	v_add_co_u32 v8, vcc_lo, v0, v8
	v_lshlrev_b64 v[16:17], 2, v[16:17]
	v_add_co_ci_u32_e32 v9, vcc_lo, v1, v9, vcc_lo
	v_add_co_u32 v10, vcc_lo, v0, v10
	v_add_co_ci_u32_e32 v11, vcc_lo, v1, v11, vcc_lo
	v_add_co_u32 v16, vcc_lo, v0, v16
	v_add_co_ci_u32_e32 v17, vcc_lo, v1, v17, vcc_lo
	v_cmp_eq_u32_e32 vcc_lo, 1, v3
	global_store_dword v[6:7], v15, off
	s_waitcnt lgkmcnt(1)
	global_store_dword v[8:9], v12, off
	global_store_dword v[10:11], v13, off
	s_waitcnt lgkmcnt(0)
	global_store_dword v[16:17], v2, off
	s_and_b32 exec_lo, exec_lo, vcc_lo
	s_cbranch_execz .LBB0_26
; %bb.25:
	ds_read_b32 v2, v5 offset:100
	s_waitcnt lgkmcnt(0)
	global_store_dword v[0:1], v2, off offset:104
.LBB0_26:
	s_endpgm
	.section	.rodata,"a",@progbits
	.p2align	6, 0x0
	.amdhsa_kernel fft_rtc_fwd_len26_factors_13_2_wgs_64_tpt_2_halfLds_half_op_CI_CI_unitstride_sbrr_R2C_dirReg
		.amdhsa_group_segment_fixed_size 0
		.amdhsa_private_segment_fixed_size 0
		.amdhsa_kernarg_size 104
		.amdhsa_user_sgpr_count 6
		.amdhsa_user_sgpr_private_segment_buffer 1
		.amdhsa_user_sgpr_dispatch_ptr 0
		.amdhsa_user_sgpr_queue_ptr 0
		.amdhsa_user_sgpr_kernarg_segment_ptr 1
		.amdhsa_user_sgpr_dispatch_id 0
		.amdhsa_user_sgpr_flat_scratch_init 0
		.amdhsa_user_sgpr_private_segment_size 0
		.amdhsa_wavefront_size32 1
		.amdhsa_uses_dynamic_stack 0
		.amdhsa_system_sgpr_private_segment_wavefront_offset 0
		.amdhsa_system_sgpr_workgroup_id_x 1
		.amdhsa_system_sgpr_workgroup_id_y 0
		.amdhsa_system_sgpr_workgroup_id_z 0
		.amdhsa_system_sgpr_workgroup_info 0
		.amdhsa_system_vgpr_workitem_id 0
		.amdhsa_next_free_vgpr 61
		.amdhsa_next_free_sgpr 27
		.amdhsa_reserve_vcc 1
		.amdhsa_reserve_flat_scratch 0
		.amdhsa_float_round_mode_32 0
		.amdhsa_float_round_mode_16_64 0
		.amdhsa_float_denorm_mode_32 3
		.amdhsa_float_denorm_mode_16_64 3
		.amdhsa_dx10_clamp 1
		.amdhsa_ieee_mode 1
		.amdhsa_fp16_overflow 0
		.amdhsa_workgroup_processor_mode 1
		.amdhsa_memory_ordered 1
		.amdhsa_forward_progress 0
		.amdhsa_shared_vgpr_count 0
		.amdhsa_exception_fp_ieee_invalid_op 0
		.amdhsa_exception_fp_denorm_src 0
		.amdhsa_exception_fp_ieee_div_zero 0
		.amdhsa_exception_fp_ieee_overflow 0
		.amdhsa_exception_fp_ieee_underflow 0
		.amdhsa_exception_fp_ieee_inexact 0
		.amdhsa_exception_int_div_zero 0
	.end_amdhsa_kernel
	.text
.Lfunc_end0:
	.size	fft_rtc_fwd_len26_factors_13_2_wgs_64_tpt_2_halfLds_half_op_CI_CI_unitstride_sbrr_R2C_dirReg, .Lfunc_end0-fft_rtc_fwd_len26_factors_13_2_wgs_64_tpt_2_halfLds_half_op_CI_CI_unitstride_sbrr_R2C_dirReg
                                        ; -- End function
	.section	.AMDGPU.csdata,"",@progbits
; Kernel info:
; codeLenInByte = 7688
; NumSgprs: 29
; NumVgprs: 61
; ScratchSize: 0
; MemoryBound: 0
; FloatMode: 240
; IeeeMode: 1
; LDSByteSize: 0 bytes/workgroup (compile time only)
; SGPRBlocks: 3
; VGPRBlocks: 7
; NumSGPRsForWavesPerEU: 29
; NumVGPRsForWavesPerEU: 61
; Occupancy: 16
; WaveLimiterHint : 1
; COMPUTE_PGM_RSRC2:SCRATCH_EN: 0
; COMPUTE_PGM_RSRC2:USER_SGPR: 6
; COMPUTE_PGM_RSRC2:TRAP_HANDLER: 0
; COMPUTE_PGM_RSRC2:TGID_X_EN: 1
; COMPUTE_PGM_RSRC2:TGID_Y_EN: 0
; COMPUTE_PGM_RSRC2:TGID_Z_EN: 0
; COMPUTE_PGM_RSRC2:TIDIG_COMP_CNT: 0
	.text
	.p2alignl 6, 3214868480
	.fill 48, 4, 3214868480
	.type	__hip_cuid_7539191c7454cad1,@object ; @__hip_cuid_7539191c7454cad1
	.section	.bss,"aw",@nobits
	.globl	__hip_cuid_7539191c7454cad1
__hip_cuid_7539191c7454cad1:
	.byte	0                               ; 0x0
	.size	__hip_cuid_7539191c7454cad1, 1

	.ident	"AMD clang version 19.0.0git (https://github.com/RadeonOpenCompute/llvm-project roc-6.4.0 25133 c7fe45cf4b819c5991fe208aaa96edf142730f1d)"
	.section	".note.GNU-stack","",@progbits
	.addrsig
	.addrsig_sym __hip_cuid_7539191c7454cad1
	.amdgpu_metadata
---
amdhsa.kernels:
  - .args:
      - .actual_access:  read_only
        .address_space:  global
        .offset:         0
        .size:           8
        .value_kind:     global_buffer
      - .offset:         8
        .size:           8
        .value_kind:     by_value
      - .actual_access:  read_only
        .address_space:  global
        .offset:         16
        .size:           8
        .value_kind:     global_buffer
      - .actual_access:  read_only
        .address_space:  global
        .offset:         24
        .size:           8
        .value_kind:     global_buffer
      - .actual_access:  read_only
        .address_space:  global
        .offset:         32
        .size:           8
        .value_kind:     global_buffer
      - .offset:         40
        .size:           8
        .value_kind:     by_value
      - .actual_access:  read_only
        .address_space:  global
        .offset:         48
        .size:           8
        .value_kind:     global_buffer
      - .actual_access:  read_only
        .address_space:  global
        .offset:         56
        .size:           8
        .value_kind:     global_buffer
      - .offset:         64
        .size:           4
        .value_kind:     by_value
      - .actual_access:  read_only
        .address_space:  global
        .offset:         72
        .size:           8
        .value_kind:     global_buffer
      - .actual_access:  read_only
        .address_space:  global
        .offset:         80
        .size:           8
        .value_kind:     global_buffer
      - .actual_access:  read_only
        .address_space:  global
        .offset:         88
        .size:           8
        .value_kind:     global_buffer
      - .actual_access:  write_only
        .address_space:  global
        .offset:         96
        .size:           8
        .value_kind:     global_buffer
    .group_segment_fixed_size: 0
    .kernarg_segment_align: 8
    .kernarg_segment_size: 104
    .language:       OpenCL C
    .language_version:
      - 2
      - 0
    .max_flat_workgroup_size: 64
    .name:           fft_rtc_fwd_len26_factors_13_2_wgs_64_tpt_2_halfLds_half_op_CI_CI_unitstride_sbrr_R2C_dirReg
    .private_segment_fixed_size: 0
    .sgpr_count:     29
    .sgpr_spill_count: 0
    .symbol:         fft_rtc_fwd_len26_factors_13_2_wgs_64_tpt_2_halfLds_half_op_CI_CI_unitstride_sbrr_R2C_dirReg.kd
    .uniform_work_group_size: 1
    .uses_dynamic_stack: false
    .vgpr_count:     61
    .vgpr_spill_count: 0
    .wavefront_size: 32
    .workgroup_processor_mode: 1
amdhsa.target:   amdgcn-amd-amdhsa--gfx1030
amdhsa.version:
  - 1
  - 2
...

	.end_amdgpu_metadata
